;; amdgpu-corpus repo=ROCm/rocFFT kind=compiled arch=gfx1030 opt=O3
	.text
	.amdgcn_target "amdgcn-amd-amdhsa--gfx1030"
	.amdhsa_code_object_version 6
	.protected	fft_rtc_fwd_len1386_factors_2_7_3_11_3_wgs_231_tpt_231_halfLds_dp_op_CI_CI_unitstride_sbrr_dirReg ; -- Begin function fft_rtc_fwd_len1386_factors_2_7_3_11_3_wgs_231_tpt_231_halfLds_dp_op_CI_CI_unitstride_sbrr_dirReg
	.globl	fft_rtc_fwd_len1386_factors_2_7_3_11_3_wgs_231_tpt_231_halfLds_dp_op_CI_CI_unitstride_sbrr_dirReg
	.p2align	8
	.type	fft_rtc_fwd_len1386_factors_2_7_3_11_3_wgs_231_tpt_231_halfLds_dp_op_CI_CI_unitstride_sbrr_dirReg,@function
fft_rtc_fwd_len1386_factors_2_7_3_11_3_wgs_231_tpt_231_halfLds_dp_op_CI_CI_unitstride_sbrr_dirReg: ; @fft_rtc_fwd_len1386_factors_2_7_3_11_3_wgs_231_tpt_231_halfLds_dp_op_CI_CI_unitstride_sbrr_dirReg
; %bb.0:
	s_clause 0x2
	s_load_dwordx4 s[12:15], s[4:5], 0x0
	s_load_dwordx4 s[8:11], s[4:5], 0x58
	;; [unrolled: 1-line block ×3, first 2 shown]
	v_mul_u32_u24_e32 v2, 0x11c, v0
	v_mov_b32_e32 v1, 0
	v_mov_b32_e32 v4, 0
	;; [unrolled: 1-line block ×3, first 2 shown]
	v_add_nc_u32_sdwa v6, s6, v2 dst_sel:DWORD dst_unused:UNUSED_PAD src0_sel:DWORD src1_sel:WORD_1
	v_mov_b32_e32 v7, v1
	s_waitcnt lgkmcnt(0)
	v_cmp_lt_u64_e64 s0, s[14:15], 2
	s_and_b32 vcc_lo, exec_lo, s0
	s_cbranch_vccnz .LBB0_8
; %bb.1:
	s_load_dwordx2 s[0:1], s[4:5], 0x10
	v_mov_b32_e32 v4, 0
	v_mov_b32_e32 v5, 0
	s_add_u32 s2, s18, 8
	s_addc_u32 s3, s19, 0
	s_add_u32 s6, s16, 8
	s_addc_u32 s7, s17, 0
	v_mov_b32_e32 v41, v5
	v_mov_b32_e32 v40, v4
	s_mov_b64 s[22:23], 1
	s_waitcnt lgkmcnt(0)
	s_add_u32 s20, s0, 8
	s_addc_u32 s21, s1, 0
.LBB0_2:                                ; =>This Inner Loop Header: Depth=1
	s_load_dwordx2 s[24:25], s[20:21], 0x0
                                        ; implicit-def: $vgpr42_vgpr43
	s_mov_b32 s0, exec_lo
	s_waitcnt lgkmcnt(0)
	v_or_b32_e32 v2, s25, v7
	v_cmpx_ne_u64_e32 0, v[1:2]
	s_xor_b32 s1, exec_lo, s0
	s_cbranch_execz .LBB0_4
; %bb.3:                                ;   in Loop: Header=BB0_2 Depth=1
	v_cvt_f32_u32_e32 v2, s24
	v_cvt_f32_u32_e32 v3, s25
	s_sub_u32 s0, 0, s24
	s_subb_u32 s26, 0, s25
	v_fmac_f32_e32 v2, 0x4f800000, v3
	v_rcp_f32_e32 v2, v2
	v_mul_f32_e32 v2, 0x5f7ffffc, v2
	v_mul_f32_e32 v3, 0x2f800000, v2
	v_trunc_f32_e32 v3, v3
	v_fmac_f32_e32 v2, 0xcf800000, v3
	v_cvt_u32_f32_e32 v3, v3
	v_cvt_u32_f32_e32 v2, v2
	v_mul_lo_u32 v8, s0, v3
	v_mul_hi_u32 v9, s0, v2
	v_mul_lo_u32 v10, s26, v2
	v_add_nc_u32_e32 v8, v9, v8
	v_mul_lo_u32 v9, s0, v2
	v_add_nc_u32_e32 v8, v8, v10
	v_mul_hi_u32 v10, v2, v9
	v_mul_lo_u32 v11, v2, v8
	v_mul_hi_u32 v12, v2, v8
	v_mul_hi_u32 v13, v3, v9
	v_mul_lo_u32 v9, v3, v9
	v_mul_hi_u32 v14, v3, v8
	v_mul_lo_u32 v8, v3, v8
	v_add_co_u32 v10, vcc_lo, v10, v11
	v_add_co_ci_u32_e32 v11, vcc_lo, 0, v12, vcc_lo
	v_add_co_u32 v9, vcc_lo, v10, v9
	v_add_co_ci_u32_e32 v9, vcc_lo, v11, v13, vcc_lo
	v_add_co_ci_u32_e32 v10, vcc_lo, 0, v14, vcc_lo
	v_add_co_u32 v8, vcc_lo, v9, v8
	v_add_co_ci_u32_e32 v9, vcc_lo, 0, v10, vcc_lo
	v_add_co_u32 v2, vcc_lo, v2, v8
	v_add_co_ci_u32_e32 v3, vcc_lo, v3, v9, vcc_lo
	v_mul_hi_u32 v8, s0, v2
	v_mul_lo_u32 v10, s26, v2
	v_mul_lo_u32 v9, s0, v3
	v_add_nc_u32_e32 v8, v8, v9
	v_mul_lo_u32 v9, s0, v2
	v_add_nc_u32_e32 v8, v8, v10
	v_mul_hi_u32 v10, v2, v9
	v_mul_lo_u32 v11, v2, v8
	v_mul_hi_u32 v12, v2, v8
	v_mul_hi_u32 v13, v3, v9
	v_mul_lo_u32 v9, v3, v9
	v_mul_hi_u32 v14, v3, v8
	v_mul_lo_u32 v8, v3, v8
	v_add_co_u32 v10, vcc_lo, v10, v11
	v_add_co_ci_u32_e32 v11, vcc_lo, 0, v12, vcc_lo
	v_add_co_u32 v9, vcc_lo, v10, v9
	v_add_co_ci_u32_e32 v9, vcc_lo, v11, v13, vcc_lo
	v_add_co_ci_u32_e32 v10, vcc_lo, 0, v14, vcc_lo
	v_add_co_u32 v8, vcc_lo, v9, v8
	v_add_co_ci_u32_e32 v9, vcc_lo, 0, v10, vcc_lo
	v_add_co_u32 v8, vcc_lo, v2, v8
	v_add_co_ci_u32_e32 v10, vcc_lo, v3, v9, vcc_lo
	v_mul_hi_u32 v12, v6, v8
	v_mad_u64_u32 v[8:9], null, v7, v8, 0
	v_mad_u64_u32 v[2:3], null, v6, v10, 0
	;; [unrolled: 1-line block ×3, first 2 shown]
	v_add_co_u32 v2, vcc_lo, v12, v2
	v_add_co_ci_u32_e32 v3, vcc_lo, 0, v3, vcc_lo
	v_add_co_u32 v2, vcc_lo, v2, v8
	v_add_co_ci_u32_e32 v2, vcc_lo, v3, v9, vcc_lo
	v_add_co_ci_u32_e32 v3, vcc_lo, 0, v11, vcc_lo
	v_add_co_u32 v8, vcc_lo, v2, v10
	v_add_co_ci_u32_e32 v9, vcc_lo, 0, v3, vcc_lo
	v_mul_lo_u32 v10, s25, v8
	v_mad_u64_u32 v[2:3], null, s24, v8, 0
	v_mul_lo_u32 v11, s24, v9
	v_sub_co_u32 v2, vcc_lo, v6, v2
	v_add3_u32 v3, v3, v11, v10
	v_sub_nc_u32_e32 v10, v7, v3
	v_subrev_co_ci_u32_e64 v10, s0, s25, v10, vcc_lo
	v_add_co_u32 v11, s0, v8, 2
	v_add_co_ci_u32_e64 v12, s0, 0, v9, s0
	v_sub_co_u32 v13, s0, v2, s24
	v_sub_co_ci_u32_e32 v3, vcc_lo, v7, v3, vcc_lo
	v_subrev_co_ci_u32_e64 v10, s0, 0, v10, s0
	v_cmp_le_u32_e32 vcc_lo, s24, v13
	v_cmp_eq_u32_e64 s0, s25, v3
	v_cndmask_b32_e64 v13, 0, -1, vcc_lo
	v_cmp_le_u32_e32 vcc_lo, s25, v10
	v_cndmask_b32_e64 v14, 0, -1, vcc_lo
	v_cmp_le_u32_e32 vcc_lo, s24, v2
	;; [unrolled: 2-line block ×3, first 2 shown]
	v_cndmask_b32_e64 v15, 0, -1, vcc_lo
	v_cmp_eq_u32_e32 vcc_lo, s25, v10
	v_cndmask_b32_e64 v2, v15, v2, s0
	v_cndmask_b32_e32 v10, v14, v13, vcc_lo
	v_add_co_u32 v13, vcc_lo, v8, 1
	v_add_co_ci_u32_e32 v14, vcc_lo, 0, v9, vcc_lo
	v_cmp_ne_u32_e32 vcc_lo, 0, v10
	v_cndmask_b32_e32 v3, v14, v12, vcc_lo
	v_cndmask_b32_e32 v10, v13, v11, vcc_lo
	v_cmp_ne_u32_e32 vcc_lo, 0, v2
	v_cndmask_b32_e32 v43, v9, v3, vcc_lo
	v_cndmask_b32_e32 v42, v8, v10, vcc_lo
.LBB0_4:                                ;   in Loop: Header=BB0_2 Depth=1
	s_andn2_saveexec_b32 s0, s1
	s_cbranch_execz .LBB0_6
; %bb.5:                                ;   in Loop: Header=BB0_2 Depth=1
	v_cvt_f32_u32_e32 v2, s24
	s_sub_i32 s1, 0, s24
	v_mov_b32_e32 v43, v1
	v_rcp_iflag_f32_e32 v2, v2
	v_mul_f32_e32 v2, 0x4f7ffffe, v2
	v_cvt_u32_f32_e32 v2, v2
	v_mul_lo_u32 v3, s1, v2
	v_mul_hi_u32 v3, v2, v3
	v_add_nc_u32_e32 v2, v2, v3
	v_mul_hi_u32 v2, v6, v2
	v_mul_lo_u32 v3, v2, s24
	v_add_nc_u32_e32 v8, 1, v2
	v_sub_nc_u32_e32 v3, v6, v3
	v_subrev_nc_u32_e32 v9, s24, v3
	v_cmp_le_u32_e32 vcc_lo, s24, v3
	v_cndmask_b32_e32 v3, v3, v9, vcc_lo
	v_cndmask_b32_e32 v2, v2, v8, vcc_lo
	v_cmp_le_u32_e32 vcc_lo, s24, v3
	v_add_nc_u32_e32 v8, 1, v2
	v_cndmask_b32_e32 v42, v2, v8, vcc_lo
.LBB0_6:                                ;   in Loop: Header=BB0_2 Depth=1
	s_or_b32 exec_lo, exec_lo, s0
	v_mul_lo_u32 v8, v43, s24
	v_mul_lo_u32 v9, v42, s25
	s_load_dwordx2 s[0:1], s[6:7], 0x0
	v_mad_u64_u32 v[2:3], null, v42, s24, 0
	s_load_dwordx2 s[24:25], s[2:3], 0x0
	s_add_u32 s22, s22, 1
	s_addc_u32 s23, s23, 0
	s_add_u32 s2, s2, 8
	s_addc_u32 s3, s3, 0
	s_add_u32 s6, s6, 8
	v_add3_u32 v3, v3, v9, v8
	v_sub_co_u32 v2, vcc_lo, v6, v2
	s_addc_u32 s7, s7, 0
	s_add_u32 s20, s20, 8
	v_sub_co_ci_u32_e32 v3, vcc_lo, v7, v3, vcc_lo
	s_addc_u32 s21, s21, 0
	s_waitcnt lgkmcnt(0)
	v_mul_lo_u32 v6, s0, v3
	v_mul_lo_u32 v7, s1, v2
	v_mad_u64_u32 v[4:5], null, s0, v2, v[4:5]
	v_mul_lo_u32 v3, s24, v3
	v_mul_lo_u32 v8, s25, v2
	v_mad_u64_u32 v[40:41], null, s24, v2, v[40:41]
	v_cmp_ge_u64_e64 s0, s[22:23], s[14:15]
	v_add3_u32 v5, v7, v5, v6
	v_add3_u32 v41, v8, v41, v3
	s_and_b32 vcc_lo, exec_lo, s0
	s_cbranch_vccnz .LBB0_9
; %bb.7:                                ;   in Loop: Header=BB0_2 Depth=1
	v_mov_b32_e32 v6, v42
	v_mov_b32_e32 v7, v43
	s_branch .LBB0_2
.LBB0_8:
	v_mov_b32_e32 v41, v5
	v_mov_b32_e32 v43, v7
	;; [unrolled: 1-line block ×4, first 2 shown]
.LBB0_9:
	s_load_dwordx2 s[0:1], s[4:5], 0x28
	v_mul_hi_u32 v1, 0x11bb4a5, v0
	s_lshl_b64 s[4:5], s[14:15], 3
                                        ; implicit-def: $vgpr64
	s_add_u32 s2, s18, s4
	s_addc_u32 s3, s19, s5
	s_waitcnt lgkmcnt(0)
	v_cmp_gt_u64_e32 vcc_lo, s[0:1], v[42:43]
	v_cmp_le_u64_e64 s0, s[0:1], v[42:43]
	s_and_saveexec_b32 s1, s0
	s_xor_b32 s0, exec_lo, s1
; %bb.10:
	v_mul_u32_u24_e32 v1, 0xe7, v1
                                        ; implicit-def: $vgpr4_vgpr5
	v_sub_nc_u32_e32 v64, v0, v1
                                        ; implicit-def: $vgpr1
                                        ; implicit-def: $vgpr0
; %bb.11:
	s_or_saveexec_b32 s1, s0
                                        ; implicit-def: $vgpr16_vgpr17
                                        ; implicit-def: $vgpr20_vgpr21
                                        ; implicit-def: $vgpr32_vgpr33
                                        ; implicit-def: $vgpr24_vgpr25
                                        ; implicit-def: $vgpr2_vgpr3
                                        ; implicit-def: $vgpr28_vgpr29
	s_xor_b32 exec_lo, exec_lo, s1
	s_cbranch_execz .LBB0_13
; %bb.12:
	s_add_u32 s4, s16, s4
	s_addc_u32 s5, s17, s5
	s_load_dwordx2 s[4:5], s[4:5], 0x0
	s_waitcnt lgkmcnt(0)
	v_mul_lo_u32 v6, s5, v42
	v_mul_lo_u32 v7, s4, v43
	v_mad_u64_u32 v[2:3], null, s4, v42, 0
	v_add3_u32 v3, v3, v7, v6
	v_mul_u32_u24_e32 v6, 0xe7, v1
	v_lshlrev_b64 v[1:2], 4, v[2:3]
	v_lshlrev_b64 v[3:4], 4, v[4:5]
	v_sub_nc_u32_e32 v64, v0, v6
	v_add_co_u32 v0, s0, s8, v1
	v_add_co_ci_u32_e64 v1, s0, s9, v2, s0
	v_lshlrev_b32_e32 v2, 4, v64
	v_add_co_u32 v0, s0, v0, v3
	v_add_co_ci_u32_e64 v1, s0, v1, v4, s0
	v_add_co_u32 v0, s0, v0, v2
	v_add_co_ci_u32_e64 v1, s0, 0, v1, s0
	;; [unrolled: 2-line block ×7, first 2 shown]
	s_clause 0x5
	global_load_dwordx4 v[26:29], v[0:1], off
	global_load_dwordx4 v[0:3], v[2:3], off offset:848
	global_load_dwordx4 v[22:25], v[4:5], off offset:1648
	;; [unrolled: 1-line block ×5, first 2 shown]
.LBB0_13:
	s_or_b32 exec_lo, exec_lo, s1
	s_waitcnt vmcnt(4)
	v_add_f64 v[6:7], v[26:27], -v[0:1]
	s_waitcnt vmcnt(2)
	v_add_f64 v[10:11], v[22:23], -v[30:31]
	;; [unrolled: 2-line block ×3, first 2 shown]
	s_load_dwordx2 s[2:3], s[2:3], 0x0
	v_add_nc_u32_e32 v65, 0xe7, v64
	v_lshl_add_u32 v34, v64, 4, 0
	v_cmp_gt_u32_e64 s0, 0xc6, v64
	v_lshlrev_b32_e32 v35, 3, v64
	v_lshl_add_u32 v30, v65, 4, 0
	v_add_nc_u32_e32 v31, 0x1ce0, v34
	v_fma_f64 v[4:5], v[26:27], 2.0, -v[6:7]
	v_fma_f64 v[8:9], v[22:23], 2.0, -v[10:11]
	;; [unrolled: 1-line block ×3, first 2 shown]
                                        ; implicit-def: $vgpr26_vgpr27
	ds_write_b128 v34, v[4:7]
	ds_write_b128 v30, v[8:11]
	ds_write_b128 v34, v[12:15] offset:7392
	s_waitcnt lgkmcnt(0)
	s_barrier
	buffer_gl0_inv
	s_and_saveexec_b32 s1, s0
	s_cbranch_execz .LBB0_15
; %bb.14:
	v_sub_nc_u32_e32 v0, v34, v35
	v_add_nc_u32_e32 v1, 0xc00, v0
	v_add_nc_u32_e32 v12, 0x1800, v0
	ds_read2_b64 v[4:7], v0 offset1:198
	ds_read2_b64 v[8:11], v1 offset0:12 offset1:210
	ds_read2_b64 v[12:15], v12 offset0:24 offset1:222
	ds_read_b64 v[26:27], v0 offset:9504
.LBB0_15:
	s_or_b32 exec_lo, exec_lo, s1
	v_add_f64 v[2:3], v[28:29], -v[2:3]
	v_add_f64 v[18:19], v[24:25], -v[32:33]
	;; [unrolled: 1-line block ×3, first 2 shown]
	s_waitcnt lgkmcnt(0)
	s_barrier
	buffer_gl0_inv
	v_fma_f64 v[0:1], v[28:29], 2.0, -v[2:3]
	v_fma_f64 v[16:17], v[24:25], 2.0, -v[18:19]
	;; [unrolled: 1-line block ×3, first 2 shown]
	ds_write_b128 v34, v[0:3]
	ds_write_b128 v30, v[16:19]
	;; [unrolled: 1-line block ×3, first 2 shown]
	s_waitcnt lgkmcnt(0)
	s_barrier
	buffer_gl0_inv
                                        ; implicit-def: $vgpr30_vgpr31
	s_and_saveexec_b32 s1, s0
	s_cbranch_execz .LBB0_17
; %bb.16:
	v_sub_nc_u32_e32 v24, v34, v35
	v_add_nc_u32_e32 v16, 0xc00, v24
	v_add_nc_u32_e32 v20, 0x1800, v24
	ds_read2_b64 v[0:3], v24 offset1:198
	ds_read2_b64 v[16:19], v16 offset0:12 offset1:210
	ds_read2_b64 v[20:23], v20 offset0:24 offset1:222
	ds_read_b64 v[30:31], v24 offset:9504
.LBB0_17:
	s_or_b32 exec_lo, exec_lo, s1
	v_and_b32_e32 v58, 1, v64
	s_mov_b32 s8, 0x37e14327
	s_mov_b32 s16, 0xb247c609
	;; [unrolled: 1-line block ×4, first 2 shown]
	v_mul_u32_u24_e32 v24, 6, v58
	s_mov_b32 s6, 0x36b3c0b5
	s_mov_b32 s4, 0xe976ee23
	;; [unrolled: 1-line block ×4, first 2 shown]
	v_lshlrev_b32_e32 v24, 4, v24
	s_mov_b32 s5, 0xbfe11646
	s_mov_b32 s19, 0xbff2aaaa
	;; [unrolled: 1-line block ×4, first 2 shown]
	s_clause 0x5
	global_load_dwordx4 v[32:35], v24, s[12:13]
	global_load_dwordx4 v[36:39], v24, s[12:13] offset:16
	global_load_dwordx4 v[44:47], v24, s[12:13] offset:80
	;; [unrolled: 1-line block ×5, first 2 shown]
	s_waitcnt vmcnt(0) lgkmcnt(0)
	s_barrier
	buffer_gl0_inv
	v_mul_f64 v[24:25], v[2:3], v[34:35]
	v_mul_f64 v[56:57], v[16:17], v[38:39]
	v_mul_f64 v[66:67], v[30:31], v[46:47]
	v_mul_f64 v[68:69], v[22:23], v[50:51]
	v_mul_f64 v[34:35], v[6:7], v[34:35]
	v_mul_f64 v[70:71], v[18:19], v[54:55]
	v_mul_f64 v[54:55], v[10:11], v[54:55]
	v_mul_f64 v[72:73], v[20:21], v[61:62]
	v_mul_f64 v[46:47], v[26:27], v[46:47]
	v_fma_f64 v[28:29], v[6:7], v[32:33], -v[24:25]
	v_fma_f64 v[6:7], v[8:9], v[36:37], -v[56:57]
	;; [unrolled: 1-line block ×4, first 2 shown]
	v_mul_f64 v[56:57], v[12:13], v[61:62]
	v_mul_f64 v[8:9], v[8:9], v[38:39]
	;; [unrolled: 1-line block ×3, first 2 shown]
	v_fma_f64 v[14:15], v[2:3], v[32:33], v[34:35]
	v_fma_f64 v[2:3], v[10:11], v[52:53], -v[70:71]
	v_fma_f64 v[10:11], v[18:19], v[52:53], v[54:55]
	v_fma_f64 v[12:13], v[12:13], v[59:60], -v[72:73]
	v_fma_f64 v[30:31], v[30:31], v[44:45], v[46:47]
	v_add_f64 v[32:33], v[28:29], v[26:27]
	v_add_f64 v[34:35], v[6:7], v[24:25]
	v_fma_f64 v[18:19], v[20:21], v[59:60], v[56:57]
	v_fma_f64 v[16:17], v[16:17], v[36:37], v[8:9]
	;; [unrolled: 1-line block ×3, first 2 shown]
	v_lshrrev_b32_e32 v59, 1, v64
	v_add_f64 v[8:9], v[2:3], v[12:13]
	v_add_f64 v[22:23], v[14:15], -v[30:31]
	v_add_f64 v[38:39], v[34:35], v[32:33]
	v_add_f64 v[46:47], v[18:19], -v[10:11]
	v_add_f64 v[36:37], v[16:17], -v[20:21]
	;; [unrolled: 1-line block ×4, first 2 shown]
	v_add_f64 v[50:51], v[8:9], v[38:39]
	v_add_f64 v[52:53], v[22:23], -v[46:47]
	v_add_f64 v[8:9], v[46:47], v[36:37]
	v_add_f64 v[46:47], v[46:47], -v[36:37]
	v_mul_f64 v[38:39], v[48:49], s[8:9]
	v_add_f64 v[4:5], v[4:5], v[50:51]
	v_mul_f64 v[54:55], v[52:53], s[16:17]
	v_add_f64 v[56:57], v[8:9], v[22:23]
	v_fma_f64 v[8:9], v[44:45], s[6:7], v[38:39]
	v_fma_f64 v[50:51], v[50:51], s[18:19], v[4:5]
	;; [unrolled: 1-line block ×3, first 2 shown]
	v_add_f64 v[48:49], v[8:9], v[50:51]
	v_fma_f64 v[52:53], v[56:57], s[14:15], v[52:53]
	v_add_f64 v[8:9], v[48:49], -v[52:53]
	s_and_saveexec_b32 s1, s0
	s_cbranch_execz .LBB0_19
; %bb.18:
	v_add_f64 v[32:33], v[34:35], -v[32:33]
	v_add_f64 v[22:23], v[36:37], -v[22:23]
	v_mul_f64 v[34:35], v[46:47], s[4:5]
	v_mul_f64 v[36:37], v[44:45], s[6:7]
	s_mov_b32 s21, 0xbfe77f67
	s_mov_b32 s20, 0x5476071b
	;; [unrolled: 1-line block ×4, first 2 shown]
	v_mul_f64 v[44:45], v[56:57], s[14:15]
	v_fma_f64 v[38:39], v[32:33], s[20:21], -v[38:39]
	v_fma_f64 v[46:47], v[22:23], s[22:23], -v[54:55]
	s_mov_b32 s23, 0x3febfeb5
	s_mov_b32 s21, 0x3fe77f67
	v_fma_f64 v[22:23], v[22:23], s[22:23], -v[34:35]
	v_fma_f64 v[32:33], v[32:33], s[20:21], -v[36:37]
	v_add_f64 v[34:35], v[38:39], v[50:51]
	v_add_f64 v[36:37], v[44:45], v[46:47]
	;; [unrolled: 1-line block ×5, first 2 shown]
	v_add_f64 v[44:45], v[34:35], -v[36:37]
	v_add_f64 v[34:35], v[36:37], v[34:35]
	v_add_f64 v[36:37], v[32:33], -v[22:23]
	v_add_f64 v[22:23], v[22:23], v[32:33]
	v_mul_u32_u24_e32 v32, 14, v59
	v_or_b32_e32 v32, v32, v58
	v_lshl_add_u32 v32, v32, 3, 0
	ds_write2_b64 v32, v[4:5], v[38:39] offset1:2
	ds_write2_b64 v32, v[34:35], v[36:37] offset0:4 offset1:6
	ds_write2_b64 v32, v[22:23], v[44:45] offset0:8 offset1:10
	ds_write_b64 v32, v[8:9] offset:96
.LBB0_19:
	s_or_b32 exec_lo, exec_lo, s1
	v_add_f64 v[30:31], v[14:15], v[30:31]
	v_add_f64 v[32:33], v[16:17], v[20:21]
	v_add_f64 v[28:29], v[28:29], -v[26:27]
	v_add_f64 v[4:5], v[10:11], v[18:19]
	v_add_f64 v[2:3], v[12:13], -v[2:3]
	v_add_f64 v[34:35], v[6:7], -v[24:25]
	v_lshl_add_u32 v66, v64, 3, 0
	s_waitcnt lgkmcnt(0)
	s_barrier
	buffer_gl0_inv
	v_add_nc_u32_e32 v47, 0xe00, v66
	v_add_nc_u32_e32 v48, 0x1c80, v66
	v_add_f64 v[10:11], v[32:33], v[30:31]
	v_add_f64 v[6:7], v[30:31], -v[4:5]
	v_add_f64 v[12:13], v[28:29], -v[2:3]
	;; [unrolled: 1-line block ×4, first 2 shown]
	v_add_f64 v[14:15], v[4:5], v[10:11]
	v_add_f64 v[4:5], v[2:3], v[34:35]
	v_mul_f64 v[20:21], v[6:7], s[8:9]
	v_mul_f64 v[18:19], v[12:13], s[16:17]
	v_add_f64 v[10:11], v[0:1], v[14:15]
	v_add_f64 v[44:45], v[4:5], v[28:29]
	v_fma_f64 v[0:1], v[38:39], s[6:7], v[20:21]
	v_fma_f64 v[2:3], v[36:37], s[4:5], v[18:19]
	;; [unrolled: 1-line block ×4, first 2 shown]
	v_add_f64 v[26:27], v[0:1], v[22:23]
	ds_read2_b64 v[0:3], v66 offset1:231
	ds_read2_b64 v[4:7], v47 offset0:14 offset1:245
	ds_read2_b64 v[14:17], v48 offset0:12 offset1:243
	s_waitcnt lgkmcnt(0)
	s_barrier
	buffer_gl0_inv
	v_add_f64 v[12:13], v[24:25], v[26:27]
	s_and_saveexec_b32 s1, s0
	s_cbranch_execz .LBB0_21
; %bb.20:
	v_mul_f64 v[38:39], v[38:39], s[6:7]
	v_add_f64 v[30:31], v[32:33], -v[30:31]
	v_mul_f64 v[32:33], v[36:37], s[4:5]
	v_add_f64 v[28:29], v[34:35], -v[28:29]
	s_mov_b32 s5, 0x3fe77f67
	s_mov_b32 s4, 0x5476071b
	;; [unrolled: 1-line block ×4, first 2 shown]
	v_mul_f64 v[34:35], v[44:45], s[14:15]
	v_fma_f64 v[36:37], v[30:31], s[4:5], -v[38:39]
	s_mov_b32 s5, 0xbfe77f67
	v_fma_f64 v[32:33], v[28:29], s[6:7], -v[32:33]
	s_mov_b32 s7, 0xbfebfeb5
	v_fma_f64 v[20:21], v[30:31], s[4:5], -v[20:21]
	v_fma_f64 v[18:19], v[28:29], s[6:7], -v[18:19]
	v_add_f64 v[28:29], v[36:37], v[22:23]
	v_add_f64 v[30:31], v[34:35], v[32:33]
	;; [unrolled: 1-line block ×4, first 2 shown]
	v_add_f64 v[22:23], v[26:27], -v[24:25]
	v_add_f64 v[24:25], v[30:31], v[28:29]
	v_add_f64 v[26:27], v[28:29], -v[30:31]
	v_add_f64 v[28:29], v[20:21], -v[18:19]
	v_add_f64 v[18:19], v[18:19], v[20:21]
	v_mul_u32_u24_e32 v20, 14, v59
	v_or_b32_e32 v20, v20, v58
	v_lshl_add_u32 v20, v20, 3, 0
	ds_write2_b64 v20, v[10:11], v[22:23] offset1:2
	ds_write2_b64 v20, v[28:29], v[24:25] offset0:4 offset1:6
	ds_write2_b64 v20, v[26:27], v[18:19] offset0:8 offset1:10
	ds_write_b64 v20, v[12:13] offset:96
.LBB0_21:
	s_or_b32 exec_lo, exec_lo, s1
	v_lshrrev_b16 v10, 1, v64
	v_mov_b32_e32 v11, 0x4925
	s_waitcnt lgkmcnt(0)
	s_barrier
	buffer_gl0_inv
	v_and_b32_e32 v46, 0x7f, v10
	v_lshrrev_b16 v10, 1, v65
	s_mov_b32 s4, 0xe8584caa
	s_mov_b32 s5, 0x3febb67a
	;; [unrolled: 1-line block ×3, first 2 shown]
	v_mul_lo_u16 v18, 0x93, v46
	v_mul_u32_u24_sdwa v10, v10, v11 dst_sel:DWORD dst_unused:UNUSED_PAD src0_sel:WORD_0 src1_sel:DWORD
	s_mov_b32 s6, s4
	v_cmp_gt_u32_e64 s0, 0x7e, v64
	v_lshrrev_b16 v61, 10, v18
	v_lshrrev_b32_e32 v62, 17, v10
	v_mov_b32_e32 v18, 5
	v_mul_lo_u16 v10, v61, 14
	v_mul_lo_u16 v11, v62, 14
	v_sub_nc_u16 v63, v64, v10
	v_sub_nc_u16 v67, v65, v11
	v_lshlrev_b32_sdwa v10, v18, v63 dst_sel:DWORD dst_unused:UNUSED_PAD src0_sel:DWORD src1_sel:BYTE_0
	v_lshlrev_b32_sdwa v11, v18, v67 dst_sel:DWORD dst_unused:UNUSED_PAD src0_sel:DWORD src1_sel:WORD_0
	s_clause 0x3
	global_load_dwordx4 v[18:21], v10, s[12:13] offset:192
	global_load_dwordx4 v[22:25], v10, s[12:13] offset:208
	;; [unrolled: 1-line block ×4, first 2 shown]
	ds_read2_b64 v[53:56], v47 offset0:14 offset1:245
	ds_read2_b64 v[57:60], v48 offset0:12 offset1:243
	s_waitcnt vmcnt(3) lgkmcnt(1)
	v_mul_f64 v[10:11], v[53:54], v[20:21]
	s_waitcnt vmcnt(2) lgkmcnt(0)
	v_mul_f64 v[32:33], v[57:58], v[24:25]
	s_waitcnt vmcnt(1)
	v_mul_f64 v[36:37], v[55:56], v[28:29]
	s_waitcnt vmcnt(0)
	v_mul_f64 v[38:39], v[59:60], v[51:52]
	v_mul_f64 v[44:45], v[6:7], v[28:29]
	;; [unrolled: 1-line block ×5, first 2 shown]
	v_fma_f64 v[30:31], v[4:5], v[18:19], -v[10:11]
	v_fma_f64 v[34:35], v[14:15], v[22:23], -v[32:33]
	;; [unrolled: 1-line block ×4, first 2 shown]
	v_fma_f64 v[36:37], v[55:56], v[26:27], v[44:45]
	v_fma_f64 v[38:39], v[59:60], v[49:50], v[47:48]
	;; [unrolled: 1-line block ×4, first 2 shown]
	v_mul_u32_u24_e32 v24, 0x150, v62
                                        ; implicit-def: $vgpr26_vgpr27
	v_add_f64 v[16:17], v[0:1], v[30:31]
	v_add_f64 v[4:5], v[30:31], v[34:35]
	;; [unrolled: 1-line block ×4, first 2 shown]
	v_add_f64 v[22:23], v[36:37], -v[38:39]
	v_add_f64 v[20:21], v[44:45], -v[32:33]
	v_fma_f64 v[0:1], v[4:5], -0.5, v[0:1]
	v_add_f64 v[18:19], v[10:11], v[28:29]
	v_fma_f64 v[2:3], v[6:7], -0.5, v[2:3]
	v_add_f64 v[4:5], v[16:17], v[34:35]
	v_mov_b32_e32 v10, 0x150
	v_mov_b32_e32 v11, 3
	v_mul_u32_u24_sdwa v10, v61, v10 dst_sel:DWORD dst_unused:UNUSED_PAD src0_sel:WORD_0 src1_sel:DWORD
	v_lshlrev_b32_sdwa v25, v11, v63 dst_sel:DWORD dst_unused:UNUSED_PAD src0_sel:DWORD src1_sel:BYTE_0
	v_lshlrev_b32_sdwa v11, v11, v67 dst_sel:DWORD dst_unused:UNUSED_PAD src0_sel:DWORD src1_sel:WORD_0
                                        ; implicit-def: $vgpr60_vgpr61
	v_add3_u32 v48, 0, v10, v25
	v_add3_u32 v47, 0, v24, v11
	v_fma_f64 v[6:7], v[20:21], s[4:5], v[0:1]
	v_fma_f64 v[16:17], v[20:21], s[6:7], v[0:1]
	;; [unrolled: 1-line block ×4, first 2 shown]
	ds_read2_b64 v[0:3], v66 offset1:231
	s_waitcnt lgkmcnt(0)
	s_barrier
	buffer_gl0_inv
	ds_write2_b64 v48, v[4:5], v[6:7] offset1:14
	ds_write_b64 v48, v[16:17] offset:224
	ds_write2_b64 v47, v[18:19], v[20:21] offset1:14
	ds_write_b64 v47, v[22:23] offset:224
	s_waitcnt lgkmcnt(0)
	s_barrier
	buffer_gl0_inv
	s_and_saveexec_b32 s1, s0
	s_cbranch_execz .LBB0_23
; %bb.22:
	v_add_nc_u32_e32 v8, 0x400, v66
	v_add_nc_u32_e32 v9, 0xc00, v66
	;; [unrolled: 1-line block ×4, first 2 shown]
	ds_read2_b64 v[4:7], v66 offset1:126
	ds_read2_b64 v[16:19], v8 offset0:124 offset1:250
	ds_read2_b64 v[20:23], v9 offset0:120 offset1:246
	;; [unrolled: 1-line block ×4, first 2 shown]
	ds_read_b64 v[60:61], v66 offset:10080
.LBB0_23:
	s_or_b32 exec_lo, exec_lo, s1
	v_add_f64 v[49:50], v[44:45], v[32:33]
	v_add_f64 v[51:52], v[36:37], v[38:39]
	;; [unrolled: 1-line block ×3, first 2 shown]
	v_add_f64 v[34:35], v[30:31], -v[34:35]
	v_add_f64 v[30:31], v[2:3], v[36:37]
	v_add_f64 v[14:15], v[14:15], -v[28:29]
	s_waitcnt lgkmcnt(0)
	s_barrier
	buffer_gl0_inv
                                        ; implicit-def: $vgpr62_vgpr63
	v_fma_f64 v[36:37], v[49:50], -0.5, v[0:1]
	v_fma_f64 v[49:50], v[51:52], -0.5, v[2:3]
	v_add_f64 v[0:1], v[44:45], v[32:33]
	v_add_f64 v[30:31], v[30:31], v[38:39]
                                        ; implicit-def: $vgpr38_vgpr39
	v_fma_f64 v[2:3], v[34:35], s[6:7], v[36:37]
	v_fma_f64 v[28:29], v[34:35], s[4:5], v[36:37]
	;; [unrolled: 1-line block ×4, first 2 shown]
	ds_write2_b64 v48, v[0:1], v[2:3] offset1:14
	ds_write_b64 v48, v[28:29] offset:224
	ds_write2_b64 v47, v[30:31], v[32:33] offset1:14
	ds_write_b64 v47, v[34:35] offset:224
	s_waitcnt lgkmcnt(0)
	s_barrier
	buffer_gl0_inv
	s_and_saveexec_b32 s1, s0
	s_cbranch_execz .LBB0_25
; %bb.24:
	v_add_nc_u32_e32 v12, 0x400, v66
	v_add_nc_u32_e32 v13, 0xc00, v66
	;; [unrolled: 1-line block ×4, first 2 shown]
	ds_read2_b64 v[0:3], v66 offset1:126
	ds_read2_b64 v[28:31], v12 offset0:124 offset1:250
	ds_read2_b64 v[32:35], v13 offset0:120 offset1:246
	;; [unrolled: 1-line block ×4, first 2 shown]
	ds_read_b64 v[62:63], v66 offset:10080
.LBB0_25:
	s_or_b32 exec_lo, exec_lo, s1
	v_mul_lo_u16 v44, v46, 49
	v_mov_b32_e32 v45, 10
	v_lshrrev_b16 v67, 10, v44
	v_mul_lo_u16 v44, v67, 42
	v_sub_nc_u16 v68, v64, v44
	v_mul_u32_u24_sdwa v44, v68, v45 dst_sel:DWORD dst_unused:UNUSED_PAD src0_sel:BYTE_0 src1_sel:DWORD
	v_lshlrev_b32_e32 v52, 4, v44
	s_clause 0x9
	global_load_dwordx4 v[44:47], v52, s[12:13] offset:656
	global_load_dwordx4 v[48:51], v52, s[12:13] offset:672
	;; [unrolled: 1-line block ×10, first 2 shown]
	s_waitcnt vmcnt(0) lgkmcnt(0)
	s_barrier
	buffer_gl0_inv
	v_mul_f64 v[52:53], v[28:29], v[46:47]
	v_mul_f64 v[46:47], v[16:17], v[46:47]
	;; [unrolled: 1-line block ×20, first 2 shown]
	v_fma_f64 v[54:55], v[16:17], v[44:45], -v[52:53]
	v_fma_f64 v[52:53], v[28:29], v[44:45], v[46:47]
	v_fma_f64 v[50:51], v[18:19], v[48:49], -v[97:98]
	v_fma_f64 v[48:49], v[30:31], v[48:49], v[99:100]
	;; [unrolled: 2-line block ×10, first 2 shown]
	s_and_saveexec_b32 s1, s0
	s_cbranch_execz .LBB0_27
; %bb.26:
	v_add_f64 v[2:3], v[4:5], v[56:57]
	v_add_f64 v[6:7], v[58:59], -v[14:15]
	v_add_f64 v[12:13], v[28:29], -v[22:23]
	;; [unrolled: 1-line block ×4, first 2 shown]
	s_mov_b32 s16, 0xfd768dbf
	s_mov_b32 s24, 0xbb3a28a1
	;; [unrolled: 1-line block ×8, first 2 shown]
	v_add_f64 v[8:9], v[52:53], -v[16:17]
	v_add_f64 v[10:11], v[56:57], v[36:37]
	s_mov_b32 s21, 0xbfefac9e
	s_mov_b32 s27, 0x3fe14ced
	;; [unrolled: 1-line block ×7, first 2 shown]
	v_add_f64 v[2:3], v[2:3], v[54:55]
	v_mul_f64 v[75:76], v[6:7], s[16:17]
	v_mul_f64 v[79:80], v[6:7], s[24:25]
	v_mul_f64 v[83:84], v[38:39], s[22:23]
	v_mul_f64 v[85:86], v[12:13], s[22:23]
	v_mul_f64 v[87:88], v[60:61], s[22:23]
	s_mov_b32 s23, 0xbfed1bb4
	v_mul_f64 v[81:82], v[6:7], s[20:21]
	v_mul_f64 v[89:90], v[6:7], s[28:29]
	;; [unrolled: 1-line block ×3, first 2 shown]
	s_mov_b32 s15, 0xbfe4f49e
	s_mov_b32 s31, 0x3fefac9e
	;; [unrolled: 1-line block ×9, first 2 shown]
	v_add_f64 v[62:63], v[54:55], v[26:27]
	s_mov_b32 s9, 0x3feaeb8c
	s_mov_b32 s19, 0x3fda9628
	v_add_f64 v[2:3], v[2:3], v[50:51]
	v_mul_f64 v[77:78], v[8:9], s[26:27]
	v_mul_f64 v[91:92], v[8:9], s[30:31]
	v_fma_f64 v[109:110], v[10:11], s[4:5], v[75:76]
	v_fma_f64 v[75:76], v[10:11], s[4:5], -v[75:76]
	v_fma_f64 v[113:114], v[10:11], s[14:15], v[79:80]
	v_fma_f64 v[79:80], v[10:11], s[14:15], -v[79:80]
	v_mul_f64 v[93:94], v[8:9], s[34:35]
	v_mul_f64 v[95:96], v[8:9], s[24:25]
	v_mul_f64 v[8:9], v[8:9], s[22:23]
	v_fma_f64 v[115:116], v[10:11], s[6:7], v[81:82]
	v_fma_f64 v[81:82], v[10:11], s[6:7], -v[81:82]
	v_fma_f64 v[117:118], v[10:11], s[8:9], -v[89:90]
	;; [unrolled: 1-line block ×3, first 2 shown]
	v_fma_f64 v[6:7], v[10:11], s[18:19], v[6:7]
	v_fma_f64 v[10:11], v[10:11], s[8:9], v[89:90]
	v_add_f64 v[69:70], v[50:51], v[24:25]
	v_mul_f64 v[97:98], v[60:61], s[24:25]
	v_mul_f64 v[99:100], v[60:61], s[28:29]
	;; [unrolled: 1-line block ×4, first 2 shown]
	v_add_f64 v[71:72], v[44:45], v[46:47]
	v_add_f64 v[2:3], v[2:3], v[44:45]
	v_fma_f64 v[111:112], v[62:63], s[8:9], v[77:78]
	v_fma_f64 v[77:78], v[62:63], s[8:9], -v[77:78]
	v_fma_f64 v[89:90], v[62:63], s[6:7], v[91:92]
	v_fma_f64 v[91:92], v[62:63], s[6:7], -v[91:92]
	v_add_f64 v[109:110], v[4:5], v[109:110]
	v_add_f64 v[75:76], v[4:5], v[75:76]
	;; [unrolled: 1-line block ×3, first 2 shown]
	v_fma_f64 v[121:122], v[62:63], s[4:5], v[93:94]
	v_fma_f64 v[93:94], v[62:63], s[4:5], -v[93:94]
	v_fma_f64 v[123:124], v[62:63], s[14:15], v[95:96]
	v_fma_f64 v[95:96], v[62:63], s[14:15], -v[95:96]
	;; [unrolled: 2-line block ×3, first 2 shown]
	v_add_f64 v[62:63], v[4:5], v[113:114]
	v_add_f64 v[113:114], v[4:5], v[115:116]
	v_add_f64 v[81:82], v[4:5], v[81:82]
	v_add_f64 v[115:116], v[4:5], v[117:118]
	v_add_f64 v[117:118], v[4:5], v[119:120]
	v_add_f64 v[6:7], v[4:5], v[6:7]
	v_add_f64 v[4:5], v[4:5], v[10:11]
	v_mul_f64 v[103:104], v[38:39], s[16:17]
	v_add_f64 v[2:3], v[2:3], v[32:33]
	v_mul_f64 v[105:106], v[38:39], s[28:29]
	v_fma_f64 v[125:126], v[69:70], s[14:15], v[97:98]
	v_fma_f64 v[97:98], v[69:70], s[14:15], -v[97:98]
	v_fma_f64 v[127:128], v[69:70], s[8:9], v[99:100]
	v_fma_f64 v[10:11], v[69:70], s[8:9], -v[99:100]
	;; [unrolled: 2-line block ×3, first 2 shown]
	v_fma_f64 v[119:120], v[69:70], s[6:7], v[101:102]
	v_fma_f64 v[131:132], v[69:70], s[4:5], v[60:61]
	v_fma_f64 v[60:61], v[69:70], s[4:5], -v[60:61]
	v_fma_f64 v[69:70], v[69:70], s[6:7], -v[101:102]
	v_mul_f64 v[101:102], v[38:39], s[30:31]
	v_mul_f64 v[38:39], v[38:39], s[24:25]
	v_add_f64 v[109:110], v[111:112], v[109:110]
	v_add_f64 v[75:76], v[77:78], v[75:76]
	;; [unrolled: 1-line block ×12, first 2 shown]
	v_mul_f64 v[107:108], v[12:13], s[20:21]
	v_mul_f64 v[111:112], v[12:13], s[24:25]
	;; [unrolled: 1-line block ×4, first 2 shown]
	v_fma_f64 v[93:94], v[71:72], s[18:19], v[83:84]
	v_fma_f64 v[83:84], v[71:72], s[18:19], -v[83:84]
	v_fma_f64 v[95:96], v[71:72], s[4:5], v[103:104]
	v_fma_f64 v[103:104], v[71:72], s[4:5], -v[103:104]
	v_fma_f64 v[113:114], v[71:72], s[8:9], v[105:106]
	v_fma_f64 v[105:106], v[71:72], s[8:9], -v[105:106]
	v_fma_f64 v[115:116], v[71:72], s[6:7], v[101:102]
	v_fma_f64 v[101:102], v[71:72], s[6:7], -v[101:102]
	v_fma_f64 v[117:118], v[71:72], s[14:15], v[38:39]
	v_fma_f64 v[38:39], v[71:72], s[14:15], -v[38:39]
	v_add_f64 v[71:72], v[125:126], v[109:110]
	v_add_f64 v[75:76], v[97:98], v[75:76]
	;; [unrolled: 1-line block ×11, first 2 shown]
	v_fma_f64 v[69:70], v[73:74], s[6:7], v[107:108]
	v_fma_f64 v[87:88], v[73:74], s[6:7], -v[107:108]
	v_fma_f64 v[89:90], v[73:74], s[18:19], v[85:86]
	v_fma_f64 v[85:86], v[73:74], s[18:19], -v[85:86]
	;; [unrolled: 2-line block ×5, first 2 shown]
	v_add_f64 v[71:72], v[93:94], v[71:72]
	v_add_f64 v[73:74], v[83:84], v[75:76]
	;; [unrolled: 1-line block ×11, first 2 shown]
	v_mov_b32_e32 v81, 0xe70
	v_mov_b32_e32 v82, 3
	v_add_f64 v[60:61], v[69:70], v[71:72]
	v_add_f64 v[69:70], v[87:88], v[73:74]
	v_add_f64 v[10:11], v[85:86], v[10:11]
	v_add_f64 v[62:63], v[89:90], v[62:63]
	v_add_f64 v[2:3], v[2:3], v[26:27]
	v_add_f64 v[71:72], v[91:92], v[75:76]
	v_add_f64 v[73:74], v[97:98], v[79:80]
	v_add_f64 v[8:9], v[12:13], v[8:9]
	v_add_f64 v[12:13], v[77:78], v[38:39]
	v_add_f64 v[6:7], v[99:100], v[6:7]
	v_add_f64 v[4:5], v[107:108], v[4:5]
	v_mul_u32_u24_sdwa v38, v67, v81 dst_sel:DWORD dst_unused:UNUSED_PAD src0_sel:WORD_0 src1_sel:DWORD
	v_lshlrev_b32_sdwa v39, v82, v68 dst_sel:DWORD dst_unused:UNUSED_PAD src0_sel:DWORD src1_sel:BYTE_0
	v_add3_u32 v38, 0, v38, v39
	v_add_nc_u32_e32 v39, 0x400, v38
	v_add_nc_u32_e32 v75, 0x800, v38
	v_add_f64 v[2:3], v[2:3], v[36:37]
	ds_write2_b64 v38, v[10:11], v[69:70] offset0:168 offset1:210
	ds_write2_b64 v39, v[60:61], v[62:63] offset0:124 offset1:166
	;; [unrolled: 1-line block ×4, first 2 shown]
	ds_write2_b64 v38, v[2:3], v[8:9] offset1:42
	ds_write_b64 v38, v[4:5] offset:3360
.LBB0_27:
	s_or_b32 exec_lo, exec_lo, s1
	v_add_nc_u32_e32 v6, 0xe00, v66
	v_add_nc_u32_e32 v7, 0x1c80, v66
	s_waitcnt lgkmcnt(0)
	s_barrier
	buffer_gl0_inv
	ds_read2_b64 v[2:5], v66 offset1:231
	ds_read2_b64 v[10:13], v6 offset0:14 offset1:245
	ds_read2_b64 v[6:9], v7 offset0:12 offset1:243
	s_waitcnt lgkmcnt(0)
	s_barrier
	buffer_gl0_inv
	s_and_saveexec_b32 s28, s0
	s_cbranch_execz .LBB0_29
; %bb.28:
	v_add_f64 v[38:39], v[0:1], v[58:59]
	v_add_f64 v[36:37], v[56:57], -v[36:37]
	s_mov_b32 s18, 0xf8bb580b
	s_mov_b32 s20, 0x43842ef
	;; [unrolled: 1-line block ×10, first 2 shown]
	v_add_f64 v[58:59], v[58:59], v[14:15]
	v_add_f64 v[26:27], v[54:55], -v[26:27]
	v_add_f64 v[32:33], v[32:33], -v[34:35]
	;; [unrolled: 1-line block ×3, first 2 shown]
	v_add_f64 v[50:51], v[30:31], v[20:21]
	s_mov_b32 s0, 0x8764f0ba
	s_mov_b32 s4, 0xd9c712b6
	;; [unrolled: 1-line block ×5, first 2 shown]
	v_add_f64 v[38:39], v[38:39], v[52:53]
	v_mul_f64 v[34:35], v[36:37], s[18:19]
	v_mul_f64 v[54:55], v[36:37], s[8:9]
	;; [unrolled: 1-line block ×5, first 2 shown]
	s_mov_b32 s7, 0xbfc2375f
	s_mov_b32 s14, 0x7f775887
	;; [unrolled: 1-line block ×11, first 2 shown]
	v_add_f64 v[52:53], v[52:53], v[16:17]
	v_mul_f64 v[62:63], v[26:27], s[8:9]
	v_mul_f64 v[69:70], v[26:27], s[22:23]
	;; [unrolled: 1-line block ×4, first 2 shown]
	v_add_f64 v[38:39], v[38:39], v[48:49]
	v_mul_f64 v[26:27], v[26:27], s[34:35]
	v_fma_f64 v[97:98], v[58:59], s[0:1], v[34:35]
	v_fma_f64 v[99:100], v[58:59], s[4:5], v[54:55]
	v_fma_f64 v[54:55], v[58:59], s[4:5], -v[54:55]
	v_fma_f64 v[101:102], v[58:59], s[6:7], v[56:57]
	v_fma_f64 v[103:104], v[58:59], s[14:15], v[60:61]
	;; [unrolled: 1-line block ×3, first 2 shown]
	v_fma_f64 v[60:61], v[58:59], s[14:15], -v[60:61]
	v_fma_f64 v[36:37], v[58:59], s[16:17], -v[36:37]
	;; [unrolled: 1-line block ×3, first 2 shown]
	v_add_f64 v[44:45], v[44:45], -v[46:47]
	v_add_f64 v[46:47], v[28:29], v[22:23]
	s_mov_b32 s9, 0x3fed1bb4
	v_add_f64 v[48:49], v[48:49], v[18:19]
	v_mul_f64 v[75:76], v[24:25], s[20:21]
	v_mul_f64 v[77:78], v[24:25], s[18:19]
	;; [unrolled: 1-line block ×5, first 2 shown]
	v_fma_f64 v[107:108], v[52:53], s[16:17], v[71:72]
	v_fma_f64 v[71:72], v[52:53], s[16:17], -v[71:72]
	v_add_f64 v[30:31], v[38:39], v[30:31]
	v_mul_f64 v[38:39], v[24:25], s[26:27]
	v_mul_f64 v[24:25], v[24:25], s[8:9]
	v_fma_f64 v[109:110], v[52:53], s[6:7], v[73:74]
	v_fma_f64 v[73:74], v[52:53], s[6:7], -v[73:74]
	v_fma_f64 v[111:112], v[52:53], s[0:1], v[26:27]
	v_fma_f64 v[26:27], v[52:53], s[0:1], -v[26:27]
	v_add_f64 v[54:55], v[0:1], v[54:55]
	v_add_f64 v[60:61], v[0:1], v[60:61]
	;; [unrolled: 1-line block ×4, first 2 shown]
	v_mul_f64 v[81:82], v[44:45], s[22:23]
	v_mul_f64 v[83:84], v[44:45], s[30:31]
	;; [unrolled: 1-line block ×6, first 2 shown]
	v_fma_f64 v[113:114], v[48:49], s[14:15], v[79:80]
	v_fma_f64 v[79:80], v[48:49], s[14:15], -v[79:80]
	v_add_f64 v[28:29], v[30:31], v[28:29]
	v_fma_f64 v[30:31], v[58:59], s[0:1], -v[34:35]
	v_fma_f64 v[34:35], v[52:53], s[4:5], v[62:63]
	v_fma_f64 v[58:59], v[52:53], s[4:5], -v[62:63]
	v_fma_f64 v[62:63], v[52:53], s[14:15], v[69:70]
	v_fma_f64 v[69:70], v[52:53], s[14:15], -v[69:70]
	v_add_f64 v[52:53], v[0:1], v[97:98]
	v_add_f64 v[97:98], v[0:1], v[99:100]
	;; [unrolled: 1-line block ×5, first 2 shown]
	v_fma_f64 v[105:106], v[48:49], s[0:1], v[77:78]
	v_fma_f64 v[77:78], v[48:49], s[0:1], -v[77:78]
	v_fma_f64 v[115:116], v[48:49], s[4:5], v[24:25]
	v_fma_f64 v[24:25], v[48:49], s[4:5], -v[24:25]
	v_add_f64 v[60:61], v[73:74], v[60:61]
	v_add_f64 v[26:27], v[26:27], v[36:37]
	;; [unrolled: 1-line block ×3, first 2 shown]
	v_fma_f64 v[71:72], v[50:51], s[6:7], -v[83:84]
	v_fma_f64 v[73:74], v[50:51], s[0:1], v[85:86]
	v_fma_f64 v[56:57], v[50:51], s[14:15], -v[81:82]
	v_add_f64 v[22:23], v[28:29], v[22:23]
	v_add_f64 v[0:1], v[0:1], v[30:31]
	v_mul_f64 v[28:29], v[44:45], s[8:9]
	v_fma_f64 v[30:31], v[48:49], s[6:7], v[75:76]
	v_fma_f64 v[44:45], v[48:49], s[6:7], -v[75:76]
	v_fma_f64 v[75:76], v[48:49], s[16:17], v[38:39]
	v_fma_f64 v[38:39], v[48:49], s[16:17], -v[38:39]
	v_add_f64 v[34:35], v[34:35], v[52:53]
	v_add_f64 v[48:49], v[62:63], v[97:98]
	;; [unrolled: 1-line block ×8, first 2 shown]
	v_fma_f64 v[36:37], v[46:47], s[16:17], -v[89:90]
	v_add_f64 v[20:21], v[22:23], v[20:21]
	v_add_f64 v[0:1], v[58:59], v[0:1]
	v_mul_f64 v[22:23], v[32:33], s[8:9]
	v_fma_f64 v[32:33], v[50:51], s[14:15], v[81:82]
	v_fma_f64 v[58:59], v[50:51], s[6:7], v[83:84]
	v_fma_f64 v[81:82], v[50:51], s[0:1], -v[85:86]
	v_fma_f64 v[83:84], v[50:51], s[16:17], v[87:88]
	v_add_f64 v[30:31], v[30:31], v[34:35]
	v_add_f64 v[34:35], v[75:76], v[48:49]
	;; [unrolled: 1-line block ×4, first 2 shown]
	v_fma_f64 v[85:86], v[50:51], s[16:17], -v[87:88]
	v_fma_f64 v[87:88], v[50:51], s[4:5], v[28:29]
	v_fma_f64 v[28:29], v[50:51], s[4:5], -v[28:29]
	v_add_f64 v[50:51], v[105:106], v[62:63]
	v_add_f64 v[54:55], v[113:114], v[69:70]
	;; [unrolled: 1-line block ×3, first 2 shown]
	v_fma_f64 v[62:63], v[46:47], s[14:15], v[93:94]
	v_fma_f64 v[60:61], v[46:47], s[0:1], -v[91:92]
	v_fma_f64 v[69:70], v[46:47], s[14:15], -v[93:94]
	v_fma_f64 v[75:76], v[46:47], s[6:7], v[95:96]
	v_fma_f64 v[77:78], v[46:47], s[6:7], -v[95:96]
	v_add_f64 v[18:19], v[20:21], v[18:19]
	v_add_f64 v[0:1], v[44:45], v[0:1]
	v_fma_f64 v[20:21], v[46:47], s[16:17], v[89:90]
	v_fma_f64 v[44:45], v[46:47], s[0:1], v[91:92]
	;; [unrolled: 1-line block ×3, first 2 shown]
	v_fma_f64 v[22:23], v[46:47], s[4:5], -v[22:23]
	v_add_f64 v[24:25], v[81:82], v[24:25]
	v_add_f64 v[30:31], v[32:33], v[30:31]
	;; [unrolled: 1-line block ×9, first 2 shown]
	v_mov_b32_e32 v52, 0xe70
	v_mov_b32_e32 v53, 3
	v_add_f64 v[16:17], v[18:19], v[16:17]
	v_add_f64 v[0:1], v[56:57], v[0:1]
	;; [unrolled: 1-line block ×13, first 2 shown]
	v_mul_u32_u24_sdwa v16, v67, v52 dst_sel:DWORD dst_unused:UNUSED_PAD src0_sel:WORD_0 src1_sel:DWORD
	v_lshlrev_b32_sdwa v17, v53, v68 dst_sel:DWORD dst_unused:UNUSED_PAD src0_sel:DWORD src1_sel:BYTE_0
	v_add3_u32 v16, 0, v16, v17
	v_add_nc_u32_e32 v17, 0x400, v16
	v_add_nc_u32_e32 v36, 0x800, v16
	ds_write2_b64 v16, v[20:21], v[30:31] offset0:84 offset1:126
	ds_write2_b64 v16, v[32:33], v[34:35] offset0:168 offset1:210
	ds_write2_b64 v17, v[26:27], v[22:23] offset0:124 offset1:166
	ds_write2_b64 v36, v[24:25], v[28:29] offset0:80 offset1:122
	ds_write2_b64 v16, v[14:15], v[18:19] offset1:42
	ds_write_b64 v16, v[0:1] offset:3360
.LBB0_29:
	s_or_b32 exec_lo, exec_lo, s28
	s_waitcnt lgkmcnt(0)
	s_barrier
	buffer_gl0_inv
	s_and_saveexec_b32 s0, vcc_lo
	s_cbranch_execz .LBB0_31
; %bb.30:
	v_lshlrev_b32_e32 v37, 1, v65
	v_mov_b32_e32 v38, 0
	v_lshlrev_b32_e32 v14, 1, v64
	v_lshrrev_b32_e32 v50, 1, v64
	v_add_nc_u32_e32 v51, 0xe7, v64
	v_mul_lo_u32 v39, s3, v42
	v_lshlrev_b64 v[0:1], 4, v[37:38]
	v_mov_b32_e32 v15, v38
	s_mov_b32 s0, 0xe8584caa
	s_mov_b32 s1, 0x3febb67a
	;; [unrolled: 1-line block ×3, first 2 shown]
	v_add_co_u32 v16, vcc_lo, s12, v0
	v_add_co_ci_u32_e32 v17, vcc_lo, s13, v1, vcc_lo
	v_lshlrev_b64 v[0:1], 4, v[14:15]
	v_add_co_u32 v18, vcc_lo, 0x1cc0, v16
	v_add_co_ci_u32_e32 v19, vcc_lo, 0, v17, vcc_lo
	v_add_co_u32 v14, vcc_lo, 0x1800, v16
	v_add_co_ci_u32_e32 v15, vcc_lo, 0, v17, vcc_lo
	;; [unrolled: 2-line block ×3, first 2 shown]
	s_clause 0x1
	global_load_dwordx4 v[14:17], v[14:15], off offset:1216
	global_load_dwordx4 v[18:21], v[18:19], off offset:16
	v_add_co_u32 v0, vcc_lo, 0x1800, v22
	v_add_co_ci_u32_e32 v1, vcc_lo, 0, v23, vcc_lo
	v_add_co_u32 v26, vcc_lo, 0x1cc0, v22
	v_add_co_ci_u32_e32 v27, vcc_lo, 0, v23, vcc_lo
	s_clause 0x1
	global_load_dwordx4 v[22:25], v[0:1], off offset:1216
	global_load_dwordx4 v[26:29], v[26:27], off offset:16
	v_add_nc_u32_e32 v0, 0xe00, v66
	v_add_nc_u32_e32 v1, 0x1c80, v66
	ds_read2_b64 v[30:33], v0 offset0:14 offset1:245
	ds_read2_b64 v[34:37], v1 offset0:12 offset1:243
	s_waitcnt vmcnt(3) lgkmcnt(1)
	v_mul_f64 v[0:1], v[32:33], v[16:17]
	s_waitcnt vmcnt(2) lgkmcnt(0)
	v_mul_f64 v[44:45], v[36:37], v[20:21]
	v_mul_f64 v[16:17], v[12:13], v[16:17]
	;; [unrolled: 1-line block ×3, first 2 shown]
	s_waitcnt vmcnt(1)
	v_mul_f64 v[46:47], v[30:31], v[24:25]
	v_mul_f64 v[24:25], v[10:11], v[24:25]
	s_waitcnt vmcnt(0)
	v_mul_f64 v[48:49], v[6:7], v[28:29]
	v_mul_f64 v[28:29], v[34:35], v[28:29]
	v_fma_f64 v[0:1], v[12:13], v[14:15], -v[0:1]
	v_fma_f64 v[12:13], v[8:9], v[18:19], -v[44:45]
	v_fma_f64 v[14:15], v[14:15], v[32:33], v[16:17]
	v_fma_f64 v[16:17], v[18:19], v[36:37], v[20:21]
	v_fma_f64 v[10:11], v[10:11], v[22:23], -v[46:47]
	v_fma_f64 v[18:19], v[22:23], v[30:31], v[24:25]
	v_fma_f64 v[20:21], v[26:27], v[34:35], v[48:49]
	v_fma_f64 v[22:23], v[6:7], v[26:27], -v[28:29]
	v_mul_hi_u32 v27, 0x8dda5203, v50
	v_lshrrev_b32_e32 v28, 1, v51
	v_mul_lo_u32 v26, s2, v43
	v_mad_u64_u32 v[24:25], null, s2, v42, 0
	ds_read2_b64 v[6:9], v66 offset1:231
	v_mul_hi_u32 v29, 0x8dda5203, v28
	s_mov_b32 s2, s0
	v_lshrrev_b32_e32 v30, 7, v27
	v_add_f64 v[31:32], v[0:1], v[12:13]
	v_mov_b32_e32 v28, v38
	v_add3_u32 v25, v25, v26, v39
	v_lshlrev_b64 v[26:27], 4, v[40:41]
	v_mul_u32_u24_e32 v37, 0x1ce, v30
	v_lshrrev_b32_e32 v49, 7, v29
	v_add_f64 v[29:30], v[14:15], v[16:17]
	v_lshlrev_b64 v[24:25], 4, v[24:25]
	v_add_f64 v[41:42], v[14:15], -v[16:17]
	v_add_f64 v[43:44], v[2:3], v[10:11]
	v_mul_u32_u24_e32 v39, 0x1ce, v49
	v_add_f64 v[33:34], v[18:19], v[20:21]
	v_add_f64 v[35:36], v[10:11], v[22:23]
	v_add_co_u32 v24, vcc_lo, s10, v24
	v_add_co_ci_u32_e32 v25, vcc_lo, s11, v25, vcc_lo
	v_add_f64 v[45:46], v[18:19], -v[20:21]
	v_add_co_u32 v53, vcc_lo, v24, v26
	v_add_co_ci_u32_e32 v54, vcc_lo, v25, v27, vcc_lo
	v_sub_nc_u32_e32 v27, v51, v39
	s_waitcnt lgkmcnt(0)
	v_add_f64 v[39:40], v[14:15], v[8:9]
	v_add_f64 v[14:15], v[18:19], v[6:7]
	v_add_f64 v[24:25], v[0:1], -v[12:13]
	v_add_f64 v[0:1], v[4:5], v[0:1]
	v_fma_f64 v[31:32], v[31:32], -0.5, v[4:5]
	v_fma_f64 v[8:9], v[29:30], -0.5, v[8:9]
	v_add_f64 v[29:30], v[10:11], -v[22:23]
	v_sub_nc_u32_e32 v37, v64, v37
	v_add_f64 v[4:5], v[43:44], v[22:23]
	v_fma_f64 v[33:34], v[33:34], -0.5, v[6:7]
	v_fma_f64 v[35:36], v[35:36], -0.5, v[2:3]
	v_lshlrev_b32_e32 v26, 4, v37
	v_mad_u32_u24 v37, 0x56a, v49, v27
	v_add_co_u32 v47, vcc_lo, v53, v26
	v_add_co_ci_u32_e32 v48, vcc_lo, 0, v54, vcc_lo
	v_add_nc_u32_e32 v27, 0x1ce, v37
	v_add_f64 v[2:3], v[16:17], v[39:40]
	v_add_f64 v[6:7], v[14:15], v[20:21]
	v_add_co_u32 v49, vcc_lo, 0x1800, v47
	v_add_f64 v[0:1], v[0:1], v[12:13]
	v_fma_f64 v[14:15], v[24:25], s[2:3], v[8:9]
	v_fma_f64 v[12:13], v[41:42], s[0:1], v[31:32]
	;; [unrolled: 1-line block ×4, first 2 shown]
	v_lshlrev_b64 v[51:52], 4, v[37:38]
	v_fma_f64 v[22:23], v[29:30], s[2:3], v[33:34]
	v_fma_f64 v[20:21], v[45:46], s[0:1], v[35:36]
	;; [unrolled: 1-line block ×4, first 2 shown]
	v_add_nc_u32_e32 v37, 0x39c, v37
	v_add_co_ci_u32_e32 v50, vcc_lo, 0, v48, vcc_lo
	v_add_co_u32 v24, vcc_lo, 0x3800, v47
	v_lshlrev_b64 v[26:27], 4, v[27:28]
	v_add_co_ci_u32_e32 v25, vcc_lo, 0, v48, vcc_lo
	v_lshlrev_b64 v[28:29], 4, v[37:38]
	v_add_co_u32 v30, vcc_lo, v53, v51
	v_add_co_ci_u32_e32 v31, vcc_lo, v54, v52, vcc_lo
	v_add_co_u32 v26, vcc_lo, v53, v26
	v_add_co_ci_u32_e32 v27, vcc_lo, v54, v27, vcc_lo
	;; [unrolled: 2-line block ×3, first 2 shown]
	global_store_dwordx4 v[47:48], v[4:7], off
	global_store_dwordx4 v[49:50], v[20:23], off offset:1248
	global_store_dwordx4 v[24:25], v[16:19], off offset:448
	global_store_dwordx4 v[30:31], v[0:3], off
	global_store_dwordx4 v[26:27], v[12:15], off
	;; [unrolled: 1-line block ×3, first 2 shown]
.LBB0_31:
	s_endpgm
	.section	.rodata,"a",@progbits
	.p2align	6, 0x0
	.amdhsa_kernel fft_rtc_fwd_len1386_factors_2_7_3_11_3_wgs_231_tpt_231_halfLds_dp_op_CI_CI_unitstride_sbrr_dirReg
		.amdhsa_group_segment_fixed_size 0
		.amdhsa_private_segment_fixed_size 0
		.amdhsa_kernarg_size 104
		.amdhsa_user_sgpr_count 6
		.amdhsa_user_sgpr_private_segment_buffer 1
		.amdhsa_user_sgpr_dispatch_ptr 0
		.amdhsa_user_sgpr_queue_ptr 0
		.amdhsa_user_sgpr_kernarg_segment_ptr 1
		.amdhsa_user_sgpr_dispatch_id 0
		.amdhsa_user_sgpr_flat_scratch_init 0
		.amdhsa_user_sgpr_private_segment_size 0
		.amdhsa_wavefront_size32 1
		.amdhsa_uses_dynamic_stack 0
		.amdhsa_system_sgpr_private_segment_wavefront_offset 0
		.amdhsa_system_sgpr_workgroup_id_x 1
		.amdhsa_system_sgpr_workgroup_id_y 0
		.amdhsa_system_sgpr_workgroup_id_z 0
		.amdhsa_system_sgpr_workgroup_info 0
		.amdhsa_system_vgpr_workitem_id 0
		.amdhsa_next_free_vgpr 133
		.amdhsa_next_free_sgpr 36
		.amdhsa_reserve_vcc 1
		.amdhsa_reserve_flat_scratch 0
		.amdhsa_float_round_mode_32 0
		.amdhsa_float_round_mode_16_64 0
		.amdhsa_float_denorm_mode_32 3
		.amdhsa_float_denorm_mode_16_64 3
		.amdhsa_dx10_clamp 1
		.amdhsa_ieee_mode 1
		.amdhsa_fp16_overflow 0
		.amdhsa_workgroup_processor_mode 1
		.amdhsa_memory_ordered 1
		.amdhsa_forward_progress 0
		.amdhsa_shared_vgpr_count 0
		.amdhsa_exception_fp_ieee_invalid_op 0
		.amdhsa_exception_fp_denorm_src 0
		.amdhsa_exception_fp_ieee_div_zero 0
		.amdhsa_exception_fp_ieee_overflow 0
		.amdhsa_exception_fp_ieee_underflow 0
		.amdhsa_exception_fp_ieee_inexact 0
		.amdhsa_exception_int_div_zero 0
	.end_amdhsa_kernel
	.text
.Lfunc_end0:
	.size	fft_rtc_fwd_len1386_factors_2_7_3_11_3_wgs_231_tpt_231_halfLds_dp_op_CI_CI_unitstride_sbrr_dirReg, .Lfunc_end0-fft_rtc_fwd_len1386_factors_2_7_3_11_3_wgs_231_tpt_231_halfLds_dp_op_CI_CI_unitstride_sbrr_dirReg
                                        ; -- End function
	.section	.AMDGPU.csdata,"",@progbits
; Kernel info:
; codeLenInByte = 8616
; NumSgprs: 38
; NumVgprs: 133
; ScratchSize: 0
; MemoryBound: 1
; FloatMode: 240
; IeeeMode: 1
; LDSByteSize: 0 bytes/workgroup (compile time only)
; SGPRBlocks: 4
; VGPRBlocks: 16
; NumSGPRsForWavesPerEU: 38
; NumVGPRsForWavesPerEU: 133
; Occupancy: 7
; WaveLimiterHint : 1
; COMPUTE_PGM_RSRC2:SCRATCH_EN: 0
; COMPUTE_PGM_RSRC2:USER_SGPR: 6
; COMPUTE_PGM_RSRC2:TRAP_HANDLER: 0
; COMPUTE_PGM_RSRC2:TGID_X_EN: 1
; COMPUTE_PGM_RSRC2:TGID_Y_EN: 0
; COMPUTE_PGM_RSRC2:TGID_Z_EN: 0
; COMPUTE_PGM_RSRC2:TIDIG_COMP_CNT: 0
	.text
	.p2alignl 6, 3214868480
	.fill 48, 4, 3214868480
	.type	__hip_cuid_849e7bc37f705d40,@object ; @__hip_cuid_849e7bc37f705d40
	.section	.bss,"aw",@nobits
	.globl	__hip_cuid_849e7bc37f705d40
__hip_cuid_849e7bc37f705d40:
	.byte	0                               ; 0x0
	.size	__hip_cuid_849e7bc37f705d40, 1

	.ident	"AMD clang version 19.0.0git (https://github.com/RadeonOpenCompute/llvm-project roc-6.4.0 25133 c7fe45cf4b819c5991fe208aaa96edf142730f1d)"
	.section	".note.GNU-stack","",@progbits
	.addrsig
	.addrsig_sym __hip_cuid_849e7bc37f705d40
	.amdgpu_metadata
---
amdhsa.kernels:
  - .args:
      - .actual_access:  read_only
        .address_space:  global
        .offset:         0
        .size:           8
        .value_kind:     global_buffer
      - .offset:         8
        .size:           8
        .value_kind:     by_value
      - .actual_access:  read_only
        .address_space:  global
        .offset:         16
        .size:           8
        .value_kind:     global_buffer
      - .actual_access:  read_only
        .address_space:  global
        .offset:         24
        .size:           8
        .value_kind:     global_buffer
      - .actual_access:  read_only
        .address_space:  global
        .offset:         32
        .size:           8
        .value_kind:     global_buffer
      - .offset:         40
        .size:           8
        .value_kind:     by_value
      - .actual_access:  read_only
        .address_space:  global
        .offset:         48
        .size:           8
        .value_kind:     global_buffer
      - .actual_access:  read_only
        .address_space:  global
        .offset:         56
        .size:           8
        .value_kind:     global_buffer
      - .offset:         64
        .size:           4
        .value_kind:     by_value
      - .actual_access:  read_only
        .address_space:  global
        .offset:         72
        .size:           8
        .value_kind:     global_buffer
      - .actual_access:  read_only
        .address_space:  global
        .offset:         80
        .size:           8
        .value_kind:     global_buffer
      - .actual_access:  read_only
        .address_space:  global
        .offset:         88
        .size:           8
        .value_kind:     global_buffer
      - .actual_access:  write_only
        .address_space:  global
        .offset:         96
        .size:           8
        .value_kind:     global_buffer
    .group_segment_fixed_size: 0
    .kernarg_segment_align: 8
    .kernarg_segment_size: 104
    .language:       OpenCL C
    .language_version:
      - 2
      - 0
    .max_flat_workgroup_size: 231
    .name:           fft_rtc_fwd_len1386_factors_2_7_3_11_3_wgs_231_tpt_231_halfLds_dp_op_CI_CI_unitstride_sbrr_dirReg
    .private_segment_fixed_size: 0
    .sgpr_count:     38
    .sgpr_spill_count: 0
    .symbol:         fft_rtc_fwd_len1386_factors_2_7_3_11_3_wgs_231_tpt_231_halfLds_dp_op_CI_CI_unitstride_sbrr_dirReg.kd
    .uniform_work_group_size: 1
    .uses_dynamic_stack: false
    .vgpr_count:     133
    .vgpr_spill_count: 0
    .wavefront_size: 32
    .workgroup_processor_mode: 1
amdhsa.target:   amdgcn-amd-amdhsa--gfx1030
amdhsa.version:
  - 1
  - 2
...

	.end_amdgpu_metadata
